;; amdgpu-corpus repo=zjin-lcf/HeCBench kind=compiled arch=gfx906 opt=O3
	.amdgcn_target "amdgcn-amd-amdhsa--gfx906"
	.amdhsa_code_object_version 6
	.section	.text._Z21sampleMultinomialOnceIffEvPiiiPKT_S3_ii,"axG",@progbits,_Z21sampleMultinomialOnceIffEvPiiiPKT_S3_ii,comdat
	.protected	_Z21sampleMultinomialOnceIffEvPiiiPKT_S3_ii ; -- Begin function _Z21sampleMultinomialOnceIffEvPiiiPKT_S3_ii
	.globl	_Z21sampleMultinomialOnceIffEvPiiiPKT_S3_ii
	.p2align	8
	.type	_Z21sampleMultinomialOnceIffEvPiiiPKT_S3_ii,@function
_Z21sampleMultinomialOnceIffEvPiiiPKT_S3_ii: ; @_Z21sampleMultinomialOnceIffEvPiiiPKT_S3_ii
; %bb.0:
	s_load_dwordx2 s[20:21], s[4:5], 0x8
	s_waitcnt lgkmcnt(0)
	s_cmp_ge_i32 s6, s20
	s_cbranch_scc1 .LBB0_48
; %bb.1:
	s_load_dwordx4 s[16:19], s[4:5], 0x10
	s_load_dwordx2 s[22:23], s[4:5], 0x0
	s_load_dwordx2 s[24:25], s[4:5], 0x20
	v_mbcnt_lo_u32_b32 v1, -1, 0
	v_mbcnt_hi_u32_b32 v1, -1, v1
	v_and_b32_e32 v6, 3, v1
	v_cmp_ne_u32_e32 vcc, 3, v6
	v_lshlrev_b32_e32 v2, 2, v1
	v_cmp_eq_u32_e64 s[2:3], 0, v1
	v_lshrrev_b32_e32 v4, 4, v0
	v_mov_b32_e32 v5, 0x400
	v_addc_co_u32_e32 v1, vcc, 0, v1, vcc
	s_load_dword s36, s[4:5], 0x28
	v_and_or_b32 v4, v4, 60, v5
	v_lshl_or_b32 v5, v6, 2, v5
	v_lshlrev_b32_e32 v6, 2, v1
	s_waitcnt lgkmcnt(0)
	v_mul_lo_u32 v1, v0, s25
	s_add_u32 s26, s4, 40
	s_addc_u32 s27, s5, 0
	s_add_i32 s33, s21, -1
	v_lshlrev_b32_e32 v8, 2, v0
	s_mul_i32 s4, s6, s24
	s_mul_i32 s5, s25, s33
	v_cmp_gt_i32_e64 s[0:1], s21, v0
	v_or_b32_e32 v3, 0xfc, v2
	v_cmp_gt_u32_e64 s[14:15], 64, v0
	v_or_b32_e32 v7, 8, v2
	v_cmp_eq_u32_e64 s[8:9], 0, v0
	v_cmp_ne_u32_e64 s[10:11], 0, v0
	v_add_u32_e32 v9, -4, v8
	v_add_u32_e32 v10, s4, v1
	s_mul_i32 s37, s36, s24
	s_add_i32 s38, s4, s5
	v_mov_b32_e32 v11, 0
	v_mov_b32_e32 v12, 1
	s_branch .LBB0_3
.LBB0_2:                                ;   in Loop: Header=BB0_3 Depth=1
	s_or_b64 exec, exec, s[4:5]
	s_add_i32 s6, s36, s6
	s_add_i32 s38, s38, s37
	s_cmp_ge_i32 s6, s20
	v_add_u32_e32 v10, s37, v10
	s_cbranch_scc1 .LBB0_48
.LBB0_3:                                ; =>This Loop Header: Depth=1
                                        ;     Child Loop BB0_5 Depth 2
                                        ;     Child Loop BB0_18 Depth 2
                                        ;       Child Loop BB0_23 Depth 3
                                        ;       Child Loop BB0_31 Depth 3
                                        ;     Child Loop BB0_38 Depth 2
	v_mov_b32_e32 v13, 0
	s_and_saveexec_b64 s[4:5], s[0:1]
	s_cbranch_execz .LBB0_7
; %bb.4:                                ;   in Loop: Header=BB0_3 Depth=1
	s_load_dword s7, s[26:27], 0xc
	v_mov_b32_e32 v13, 0
	s_mov_b64 s[12:13], 0
	s_waitcnt lgkmcnt(0)
	v_mov_b32_e32 v1, v10
	v_mov_b32_e32 v14, v0
	s_waitcnt lgkmcnt(0)
	s_and_b32 s7, s7, 0xffff
	s_mul_i32 s28, s25, s7
.LBB0_5:                                ;   Parent Loop BB0_3 Depth=1
                                        ; =>  This Inner Loop Header: Depth=2
	v_ashrrev_i32_e32 v2, 31, v1
	v_lshlrev_b64 v[15:16], 2, v[1:2]
	v_mov_b32_e32 v2, s19
	v_add_co_u32_e32 v15, vcc, s18, v15
	v_addc_co_u32_e32 v16, vcc, v2, v16, vcc
	global_load_dword v2, v[15:16], off
	v_add_u32_e32 v14, s7, v14
	v_cmp_le_i32_e32 vcc, s21, v14
	s_or_b64 s[12:13], vcc, s[12:13]
	v_add_u32_e32 v1, s28, v1
	s_waitcnt vmcnt(0)
	v_add_f32_e32 v13, v13, v2
	s_andn2_b64 exec, exec, s[12:13]
	s_cbranch_execnz .LBB0_5
; %bb.6:                                ;   in Loop: Header=BB0_3 Depth=1
	s_or_b64 exec, exec, s[12:13]
.LBB0_7:                                ;   in Loop: Header=BB0_3 Depth=1
	s_or_b64 exec, exec, s[4:5]
	s_waitcnt lgkmcnt(0)
	v_add_f32_dpp v1, v13, v13 quad_perm:[1,0,3,2] row_mask:0xf bank_mask:0xf bound_ctrl:1
	s_nop 1
	v_add_f32_dpp v1, v1, v1 quad_perm:[2,3,0,1] row_mask:0xf bank_mask:0xf bound_ctrl:1
	s_nop 1
	v_add_f32_dpp v1, v1, v1 row_ror:4 row_mask:0xf bank_mask:0xf bound_ctrl:1
	s_nop 1
	v_add_f32_dpp v1, v1, v1 row_ror:8 row_mask:0xf bank_mask:0xf bound_ctrl:1
	s_nop 1
	v_add_f32_dpp v1, v1, v1 row_bcast:15 row_mask:0xf bank_mask:0xf bound_ctrl:1
	s_nop 1
	v_add_f32_dpp v1, v1, v1 row_bcast:31 row_mask:0xf bank_mask:0xf bound_ctrl:1
	ds_bpermute_b32 v1, v3, v1
	s_and_saveexec_b64 s[4:5], s[2:3]
	s_cbranch_execz .LBB0_9
; %bb.8:                                ;   in Loop: Header=BB0_3 Depth=1
	s_waitcnt lgkmcnt(0)
	ds_write_b32 v4, v1
.LBB0_9:                                ;   in Loop: Header=BB0_3 Depth=1
	s_or_b64 exec, exec, s[4:5]
	s_waitcnt vmcnt(0) lgkmcnt(0)
	s_barrier
	s_and_saveexec_b64 s[4:5], s[14:15]
	s_cbranch_execz .LBB0_11
; %bb.10:                               ;   in Loop: Header=BB0_3 Depth=1
	ds_read_b32 v1, v5
	s_waitcnt lgkmcnt(0)
	ds_bpermute_b32 v2, v6, v1
	s_waitcnt lgkmcnt(0)
	v_add_f32_e32 v1, v1, v2
	ds_bpermute_b32 v2, v7, v1
	s_waitcnt lgkmcnt(0)
	v_add_f32_e32 v1, v1, v2
.LBB0_11:                               ;   in Loop: Header=BB0_3 Depth=1
	s_or_b64 exec, exec, s[4:5]
	s_and_saveexec_b64 s[4:5], s[8:9]
	s_cbranch_execz .LBB0_13
; %bb.12:                               ;   in Loop: Header=BB0_3 Depth=1
	s_ashr_i32 s7, s6, 31
	s_lshl_b64 s[12:13], s[6:7], 2
	s_add_u32 s12, s16, s12
	s_addc_u32 s13, s17, s13
	s_load_dword s7, s[12:13], 0x0
	ds_write_b32 v11, v11 offset:1040
	s_waitcnt lgkmcnt(0)
	v_mov_b32_e32 v2, s7
	ds_write_b64 v11, v[1:2]
.LBB0_13:                               ;   in Loop: Header=BB0_3 Depth=1
	s_or_b64 exec, exec, s[4:5]
	s_waitcnt lgkmcnt(0)
	s_barrier
	ds_read_b64 v[1:2], v11
	s_waitcnt lgkmcnt(0)
	s_barrier
	v_cmp_neq_f32_e32 vcc, 0, v1
	s_cbranch_vccz .LBB0_47
; %bb.14:                               ;   in Loop: Header=BB0_3 Depth=1
	s_load_dword s4, s[26:27], 0xc
	ds_write_b8 v11, v11 offset:1044
	s_waitcnt lgkmcnt(0)
	s_and_b32 s7, s4, 0xffff
	v_cvt_f32_u32_e32 v13, s7
	s_sub_i32 s5, 0, s7
	s_add_i32 s4, s33, s7
	v_rcp_iflag_f32_e32 v13, v13
	v_mul_f32_e32 v13, 0x4f7ffffe, v13
	v_cvt_u32_f32_e32 v13, v13
	v_readfirstlane_b32 s12, v13
	s_mul_i32 s5, s5, s12
	s_mul_hi_u32 s5, s12, s5
	s_add_i32 s12, s12, s5
	s_mul_hi_u32 s5, s4, s12
	s_mul_i32 s12, s5, s7
	s_sub_i32 s4, s4, s12
	s_add_i32 s13, s5, 1
	s_sub_i32 s12, s4, s7
	s_cmp_ge_u32 s4, s7
	s_cselect_b32 s5, s13, s5
	s_cselect_b32 s4, s12, s4
	s_add_i32 s12, s5, 1
	s_cmp_ge_u32 s4, s7
	s_cselect_b32 s30, s12, s5
	s_cmp_lt_i32 s30, 1
	s_mov_b64 s[12:13], 0
	s_cbranch_scc1 .LBB0_34
; %bb.15:                               ;   in Loop: Header=BB0_3 Depth=1
	s_cmp_gt_u32 s7, 1
	s_cselect_b64 s[4:5], -1, 0
	s_lshl_b32 s34, s7, 2
	s_mul_i32 s31, s6, s24
	s_add_i32 s34, s34, -4
	s_mov_b32 s35, 0
	v_mov_b32_e32 v13, 0
	s_branch .LBB0_18
.LBB0_16:                               ;   in Loop: Header=BB0_18 Depth=2
	s_or_b64 exec, exec, s[28:29]
	ds_write_b8 v11, v12 offset:1044
.LBB0_17:                               ;   in Loop: Header=BB0_18 Depth=2
	s_or_b64 exec, exec, s[12:13]
	v_mov_b32_e32 v14, s34
	ds_read_b32 v14, v14
	s_waitcnt lgkmcnt(0)
	s_barrier
	ds_read_u8 v15, v11 offset:1044
	s_add_i32 s35, s35, 1
	s_cmp_ge_i32 s35, s30
	s_cselect_b64 s[28:29], -1, 0
	v_add_f32_e32 v13, v13, v14
	s_waitcnt lgkmcnt(0)
	v_readfirstlane_b32 s12, v15
	s_bitcmp1_b32 s12, 0
	s_cselect_b64 s[12:13], -1, 0
	s_or_b64 s[28:29], s[28:29], s[12:13]
	s_and_b64 vcc, exec, s[28:29]
	s_cbranch_vccnz .LBB0_34
.LBB0_18:                               ;   Parent Loop BB0_3 Depth=1
                                        ; =>  This Loop Header: Depth=2
                                        ;       Child Loop BB0_23 Depth 3
                                        ;       Child Loop BB0_31 Depth 3
	s_mul_i32 s12, s35, s7
	v_add_u32_e32 v14, s12, v0
	v_cmp_gt_i32_e64 s[12:13], s21, v14
	v_mov_b32_e32 v15, 0
	s_and_saveexec_b64 s[28:29], s[12:13]
	s_cbranch_execz .LBB0_20
; %bb.19:                               ;   in Loop: Header=BB0_18 Depth=2
	v_mul_lo_u32 v15, v14, s25
	v_mov_b32_e32 v17, s19
	v_add_u32_e32 v15, s31, v15
	v_ashrrev_i32_e32 v16, 31, v15
	v_lshlrev_b64 v[15:16], 2, v[15:16]
	v_add_co_u32_e32 v15, vcc, s18, v15
	v_addc_co_u32_e32 v16, vcc, v17, v16, vcc
	global_load_dword v15, v[15:16], off
	s_waitcnt vmcnt(0)
	v_div_scale_f32 v16, s[40:41], v1, v1, v15
	v_div_scale_f32 v17, vcc, v15, v1, v15
	v_rcp_f32_e32 v18, v16
	v_fma_f32 v19, -v16, v18, 1.0
	v_fmac_f32_e32 v18, v19, v18
	v_mul_f32_e32 v19, v17, v18
	v_fma_f32 v20, -v16, v19, v17
	v_fmac_f32_e32 v19, v20, v18
	v_fma_f32 v16, -v16, v19, v17
	v_div_fmas_f32 v16, v16, v18, v19
	v_div_fixup_f32 v15, v16, v1, v15
.LBB0_20:                               ;   in Loop: Header=BB0_18 Depth=2
	s_or_b64 exec, exec, s[28:29]
	s_andn2_b64 vcc, exec, s[4:5]
	ds_write_b32 v8, v15
	s_waitcnt lgkmcnt(0)
	s_barrier
	s_cbranch_vccnz .LBB0_27
; %bb.21:                               ;   in Loop: Header=BB0_18 Depth=2
	s_mov_b32 s39, 1
	s_branch .LBB0_23
.LBB0_22:                               ;   in Loop: Header=BB0_23 Depth=3
	s_or_b64 exec, exec, s[28:29]
	s_lshl_b32 s39, s39, 1
	s_cmp_ge_u32 s39, s7
	s_waitcnt lgkmcnt(0)
	s_barrier
	s_cbranch_scc1 .LBB0_27
.LBB0_23:                               ;   Parent Loop BB0_3 Depth=1
                                        ;     Parent Loop BB0_18 Depth=2
                                        ; =>    This Inner Loop Header: Depth=3
	v_cmp_le_u32_e32 vcc, s39, v0
	v_mov_b32_e32 v16, 0
	s_and_saveexec_b64 s[28:29], vcc
	s_cbranch_execz .LBB0_25
; %bb.24:                               ;   in Loop: Header=BB0_23 Depth=3
	v_subrev_u32_e32 v16, s39, v0
	v_lshlrev_b32_e32 v16, 2, v16
	ds_read_b32 v16, v16
	ds_read_b32 v17, v8
	s_waitcnt lgkmcnt(0)
	v_add_f32_e32 v16, v16, v17
.LBB0_25:                               ;   in Loop: Header=BB0_23 Depth=3
	s_or_b64 exec, exec, s[28:29]
	s_barrier
	s_and_saveexec_b64 s[28:29], vcc
	s_cbranch_execz .LBB0_22
; %bb.26:                               ;   in Loop: Header=BB0_23 Depth=3
	ds_write_b32 v8, v16
	s_branch .LBB0_22
.LBB0_27:                               ;   in Loop: Header=BB0_18 Depth=2
	ds_read_b32 v16, v8
	v_mov_b32_e32 v17, v13
	s_and_saveexec_b64 s[28:29], s[10:11]
	s_cbranch_execz .LBB0_29
; %bb.28:                               ;   in Loop: Header=BB0_18 Depth=2
	ds_read_b32 v17, v9
	s_waitcnt lgkmcnt(0)
	v_add_f32_e32 v17, v13, v17
.LBB0_29:                               ;   in Loop: Header=BB0_18 Depth=2
	s_or_b64 exec, exec, s[28:29]
	s_waitcnt lgkmcnt(0)
	v_add_f32_e32 v16, v13, v16
	v_cmp_nge_f32_e32 vcc, v2, v16
	s_and_b64 s[12:13], s[12:13], vcc
	v_cmp_ge_f32_e32 vcc, v2, v17
	s_and_b64 s[12:13], s[12:13], vcc
	v_cmp_lt_f32_e32 vcc, 0, v15
	s_and_b64 s[28:29], s[12:13], vcc
	s_and_saveexec_b64 s[12:13], s[28:29]
	s_cbranch_execz .LBB0_17
; %bb.30:                               ;   in Loop: Header=BB0_18 Depth=2
	s_mov_b64 s[28:29], exec
	s_brev_b32 s39, 1
.LBB0_31:                               ;   Parent Loop BB0_3 Depth=1
                                        ;     Parent Loop BB0_18 Depth=2
                                        ; =>    This Inner Loop Header: Depth=3
	s_ff1_i32_b64 s40, s[28:29]
	v_readlane_b32 s42, v14, s40
	s_lshl_b64 s[40:41], 1, s40
	s_max_i32 s39, s39, s42
	s_andn2_b64 s[28:29], s[28:29], s[40:41]
	s_cmp_lg_u64 s[28:29], 0
	s_cbranch_scc1 .LBB0_31
; %bb.32:                               ;   in Loop: Header=BB0_18 Depth=2
	v_mbcnt_lo_u32_b32 v14, exec_lo, 0
	v_mbcnt_hi_u32_b32 v14, exec_hi, v14
	v_cmp_eq_u32_e32 vcc, 0, v14
	s_and_saveexec_b64 s[28:29], vcc
	s_xor_b64 s[28:29], exec, s[28:29]
	s_cbranch_execz .LBB0_16
; %bb.33:                               ;   in Loop: Header=BB0_18 Depth=2
	v_mov_b32_e32 v14, s39
	ds_max_i32 v11, v14 offset:1040
	s_branch .LBB0_16
.LBB0_34:                               ;   in Loop: Header=BB0_3 Depth=1
	s_xor_b64 s[30:31], s[12:13], -1
	s_mov_b64 s[4:5], 0
	s_mov_b64 s[28:29], 0
                                        ; implicit-def: $vgpr1
	s_and_saveexec_b64 s[12:13], s[8:9]
	s_cbranch_execz .LBB0_43
; %bb.35:                               ;   in Loop: Header=BB0_3 Depth=1
	s_and_b64 vcc, exec, s[30:31]
	s_mov_b32 s28, s38
	s_mov_b32 s7, s21
	s_cbranch_vccnz .LBB0_38
; %bb.36:                               ;   in Loop: Header=BB0_3 Depth=1
	s_mov_b64 s[28:29], 0
                                        ; implicit-def: $sgpr7
	v_mov_b32_e32 v1, s7
	s_cbranch_execnz .LBB0_41
	s_branch .LBB0_42
.LBB0_37:                               ;   in Loop: Header=BB0_38 Depth=2
	s_ashr_i32 s29, s28, 31
	s_add_i32 s7, s7, -1
	s_lshl_b64 s[30:31], s[28:29], 2
	s_add_u32 s30, s18, s30
	s_addc_u32 s31, s19, s31
	s_load_dword s29, s[30:31], 0x0
	s_sub_i32 s28, s28, s25
	s_mov_b64 s[30:31], 0
	s_waitcnt lgkmcnt(0)
	v_cmp_gt_f32_e64 s[34:35], s29, 0
	s_andn2_b64 vcc, exec, s[34:35]
	s_cbranch_vccz .LBB0_40
.LBB0_38:                               ;   Parent Loop BB0_3 Depth=1
                                        ; =>  This Inner Loop Header: Depth=2
	s_cmp_lt_i32 s7, 1
	s_cbranch_scc0 .LBB0_37
; %bb.39:                               ;   in Loop: Header=BB0_3 Depth=1
	s_mov_b64 s[30:31], -1
                                        ; implicit-def: $sgpr28
                                        ; implicit-def: $sgpr7
.LBB0_40:                               ;   in Loop: Header=BB0_3 Depth=1
	s_xor_b64 s[28:29], s[30:31], -1
	v_mov_b32_e32 v1, s7
	s_branch .LBB0_42
.LBB0_41:                               ;   in Loop: Header=BB0_3 Depth=1
	ds_read_b32 v1, v11 offset:1040
	s_mov_b64 s[28:29], -1
.LBB0_42:                               ;   in Loop: Header=BB0_3 Depth=1
	s_and_b64 s[28:29], s[28:29], exec
.LBB0_43:                               ;   in Loop: Header=BB0_3 Depth=1
	s_or_b64 exec, exec, s[12:13]
	s_and_b64 vcc, exec, s[4:5]
	s_cbranch_vccz .LBB0_45
.LBB0_44:                               ;   in Loop: Header=BB0_3 Depth=1
	s_andn2_b64 s[4:5], s[28:29], exec
	s_and_b64 s[12:13], s[8:9], exec
	s_waitcnt lgkmcnt(0)
	v_mov_b32_e32 v1, 0
	s_or_b64 s[28:29], s[4:5], s[12:13]
.LBB0_45:                               ;   in Loop: Header=BB0_3 Depth=1
	s_and_saveexec_b64 s[4:5], s[28:29]
	s_cbranch_execz .LBB0_2
; %bb.46:                               ;   in Loop: Header=BB0_3 Depth=1
	s_ashr_i32 s7, s6, 31
	s_lshl_b64 s[12:13], s[6:7], 2
	s_add_u32 s12, s22, s12
	s_addc_u32 s13, s23, s13
	s_waitcnt lgkmcnt(0)
	global_store_dword v11, v1, s[12:13]
	s_branch .LBB0_2
.LBB0_47:                               ;   in Loop: Header=BB0_3 Depth=1
	s_mov_b64 s[28:29], 0
                                        ; implicit-def: $vgpr1
	s_cbranch_execnz .LBB0_44
	s_branch .LBB0_45
.LBB0_48:
	s_endpgm
	.section	.rodata,"a",@progbits
	.p2align	6, 0x0
	.amdhsa_kernel _Z21sampleMultinomialOnceIffEvPiiiPKT_S3_ii
		.amdhsa_group_segment_fixed_size 1048
		.amdhsa_private_segment_fixed_size 0
		.amdhsa_kernarg_size 296
		.amdhsa_user_sgpr_count 6
		.amdhsa_user_sgpr_private_segment_buffer 1
		.amdhsa_user_sgpr_dispatch_ptr 0
		.amdhsa_user_sgpr_queue_ptr 0
		.amdhsa_user_sgpr_kernarg_segment_ptr 1
		.amdhsa_user_sgpr_dispatch_id 0
		.amdhsa_user_sgpr_flat_scratch_init 0
		.amdhsa_user_sgpr_private_segment_size 0
		.amdhsa_uses_dynamic_stack 0
		.amdhsa_system_sgpr_private_segment_wavefront_offset 0
		.amdhsa_system_sgpr_workgroup_id_x 1
		.amdhsa_system_sgpr_workgroup_id_y 0
		.amdhsa_system_sgpr_workgroup_id_z 0
		.amdhsa_system_sgpr_workgroup_info 0
		.amdhsa_system_vgpr_workitem_id 0
		.amdhsa_next_free_vgpr 21
		.amdhsa_next_free_sgpr 43
		.amdhsa_reserve_vcc 1
		.amdhsa_reserve_flat_scratch 0
		.amdhsa_float_round_mode_32 0
		.amdhsa_float_round_mode_16_64 0
		.amdhsa_float_denorm_mode_32 3
		.amdhsa_float_denorm_mode_16_64 3
		.amdhsa_dx10_clamp 1
		.amdhsa_ieee_mode 1
		.amdhsa_fp16_overflow 0
		.amdhsa_exception_fp_ieee_invalid_op 0
		.amdhsa_exception_fp_denorm_src 0
		.amdhsa_exception_fp_ieee_div_zero 0
		.amdhsa_exception_fp_ieee_overflow 0
		.amdhsa_exception_fp_ieee_underflow 0
		.amdhsa_exception_fp_ieee_inexact 0
		.amdhsa_exception_int_div_zero 0
	.end_amdhsa_kernel
	.section	.text._Z21sampleMultinomialOnceIffEvPiiiPKT_S3_ii,"axG",@progbits,_Z21sampleMultinomialOnceIffEvPiiiPKT_S3_ii,comdat
.Lfunc_end0:
	.size	_Z21sampleMultinomialOnceIffEvPiiiPKT_S3_ii, .Lfunc_end0-_Z21sampleMultinomialOnceIffEvPiiiPKT_S3_ii
                                        ; -- End function
	.set _Z21sampleMultinomialOnceIffEvPiiiPKT_S3_ii.num_vgpr, 21
	.set _Z21sampleMultinomialOnceIffEvPiiiPKT_S3_ii.num_agpr, 0
	.set _Z21sampleMultinomialOnceIffEvPiiiPKT_S3_ii.numbered_sgpr, 43
	.set _Z21sampleMultinomialOnceIffEvPiiiPKT_S3_ii.num_named_barrier, 0
	.set _Z21sampleMultinomialOnceIffEvPiiiPKT_S3_ii.private_seg_size, 0
	.set _Z21sampleMultinomialOnceIffEvPiiiPKT_S3_ii.uses_vcc, 1
	.set _Z21sampleMultinomialOnceIffEvPiiiPKT_S3_ii.uses_flat_scratch, 0
	.set _Z21sampleMultinomialOnceIffEvPiiiPKT_S3_ii.has_dyn_sized_stack, 0
	.set _Z21sampleMultinomialOnceIffEvPiiiPKT_S3_ii.has_recursion, 0
	.set _Z21sampleMultinomialOnceIffEvPiiiPKT_S3_ii.has_indirect_call, 0
	.section	.AMDGPU.csdata,"",@progbits
; Kernel info:
; codeLenInByte = 1580
; TotalNumSgprs: 47
; NumVgprs: 21
; ScratchSize: 0
; MemoryBound: 0
; FloatMode: 240
; IeeeMode: 1
; LDSByteSize: 1048 bytes/workgroup (compile time only)
; SGPRBlocks: 5
; VGPRBlocks: 5
; NumSGPRsForWavesPerEU: 47
; NumVGPRsForWavesPerEU: 21
; Occupancy: 10
; WaveLimiterHint : 0
; COMPUTE_PGM_RSRC2:SCRATCH_EN: 0
; COMPUTE_PGM_RSRC2:USER_SGPR: 6
; COMPUTE_PGM_RSRC2:TRAP_HANDLER: 0
; COMPUTE_PGM_RSRC2:TGID_X_EN: 1
; COMPUTE_PGM_RSRC2:TGID_Y_EN: 0
; COMPUTE_PGM_RSRC2:TGID_Z_EN: 0
; COMPUTE_PGM_RSRC2:TIDIG_COMP_CNT: 0
	.section	.AMDGPU.gpr_maximums,"",@progbits
	.set amdgpu.max_num_vgpr, 0
	.set amdgpu.max_num_agpr, 0
	.set amdgpu.max_num_sgpr, 0
	.section	.AMDGPU.csdata,"",@progbits
	.type	__hip_cuid_2c50b1435b790dea,@object ; @__hip_cuid_2c50b1435b790dea
	.section	.bss,"aw",@nobits
	.globl	__hip_cuid_2c50b1435b790dea
__hip_cuid_2c50b1435b790dea:
	.byte	0                               ; 0x0
	.size	__hip_cuid_2c50b1435b790dea, 1

	.ident	"AMD clang version 22.0.0git (https://github.com/RadeonOpenCompute/llvm-project roc-7.2.4 26084 f58b06dce1f9c15707c5f808fd002e18c2accf7e)"
	.section	".note.GNU-stack","",@progbits
	.addrsig
	.addrsig_sym __hip_cuid_2c50b1435b790dea
	.amdgpu_metadata
---
amdhsa.kernels:
  - .args:
      - .address_space:  global
        .offset:         0
        .size:           8
        .value_kind:     global_buffer
      - .offset:         8
        .size:           4
        .value_kind:     by_value
      - .offset:         12
        .size:           4
        .value_kind:     by_value
      - .actual_access:  read_only
        .address_space:  global
        .offset:         16
        .size:           8
        .value_kind:     global_buffer
      - .actual_access:  read_only
        .address_space:  global
        .offset:         24
        .size:           8
        .value_kind:     global_buffer
      - .offset:         32
        .size:           4
        .value_kind:     by_value
      - .offset:         36
        .size:           4
        .value_kind:     by_value
      - .offset:         40
        .size:           4
        .value_kind:     hidden_block_count_x
      - .offset:         44
        .size:           4
        .value_kind:     hidden_block_count_y
      - .offset:         48
        .size:           4
        .value_kind:     hidden_block_count_z
      - .offset:         52
        .size:           2
        .value_kind:     hidden_group_size_x
      - .offset:         54
        .size:           2
        .value_kind:     hidden_group_size_y
      - .offset:         56
        .size:           2
        .value_kind:     hidden_group_size_z
      - .offset:         58
        .size:           2
        .value_kind:     hidden_remainder_x
      - .offset:         60
        .size:           2
        .value_kind:     hidden_remainder_y
      - .offset:         62
        .size:           2
        .value_kind:     hidden_remainder_z
      - .offset:         80
        .size:           8
        .value_kind:     hidden_global_offset_x
      - .offset:         88
        .size:           8
        .value_kind:     hidden_global_offset_y
      - .offset:         96
        .size:           8
        .value_kind:     hidden_global_offset_z
      - .offset:         104
        .size:           2
        .value_kind:     hidden_grid_dims
    .group_segment_fixed_size: 1048
    .kernarg_segment_align: 8
    .kernarg_segment_size: 296
    .language:       OpenCL C
    .language_version:
      - 2
      - 0
    .max_flat_workgroup_size: 1024
    .name:           _Z21sampleMultinomialOnceIffEvPiiiPKT_S3_ii
    .private_segment_fixed_size: 0
    .sgpr_count:     47
    .sgpr_spill_count: 0
    .symbol:         _Z21sampleMultinomialOnceIffEvPiiiPKT_S3_ii.kd
    .uniform_work_group_size: 1
    .uses_dynamic_stack: false
    .vgpr_count:     21
    .vgpr_spill_count: 0
    .wavefront_size: 64
amdhsa.target:   amdgcn-amd-amdhsa--gfx906
amdhsa.version:
  - 1
  - 2
...

	.end_amdgpu_metadata
